;; amdgpu-corpus repo=ROCm/rocFFT kind=compiled arch=gfx1201 opt=O3
	.text
	.amdgcn_target "amdgcn-amd-amdhsa--gfx1201"
	.amdhsa_code_object_version 6
	.protected	fft_rtc_fwd_len96_factors_4_2_3_4_wgs_192_tpt_8_dim2_sp_ip_CI_sbcc_twdbase8_2step_dirReg_intrinsicReadWrite ; -- Begin function fft_rtc_fwd_len96_factors_4_2_3_4_wgs_192_tpt_8_dim2_sp_ip_CI_sbcc_twdbase8_2step_dirReg_intrinsicReadWrite
	.globl	fft_rtc_fwd_len96_factors_4_2_3_4_wgs_192_tpt_8_dim2_sp_ip_CI_sbcc_twdbase8_2step_dirReg_intrinsicReadWrite
	.p2align	8
	.type	fft_rtc_fwd_len96_factors_4_2_3_4_wgs_192_tpt_8_dim2_sp_ip_CI_sbcc_twdbase8_2step_dirReg_intrinsicReadWrite,@function
fft_rtc_fwd_len96_factors_4_2_3_4_wgs_192_tpt_8_dim2_sp_ip_CI_sbcc_twdbase8_2step_dirReg_intrinsicReadWrite: ; @fft_rtc_fwd_len96_factors_4_2_3_4_wgs_192_tpt_8_dim2_sp_ip_CI_sbcc_twdbase8_2step_dirReg_intrinsicReadWrite
; %bb.0:
	s_load_b128 s[4:7], s[0:1], 0x10
	s_mov_b32 s9, 0
	s_mov_b32 s2, 0xaaaa0000
	;; [unrolled: 1-line block ×4, first 2 shown]
	s_movk_i32 s10, 0xffe8
	s_add_nc_u64 s[2:3], s[8:9], s[2:3]
	s_mov_b32 s11, -1
	s_add_co_i32 s3, s3, 0xaaaaa80
	s_delay_alu instid0(SALU_CYCLE_1) | instskip(NEXT) | instid1(SALU_CYCLE_1)
	s_mul_u64 s[12:13], s[2:3], s[10:11]
	s_mul_hi_u32 s8, s2, s12
	s_mul_i32 s15, s3, s12
	s_mul_hi_u32 s14, s3, s12
	s_mul_hi_u32 s16, s3, s13
	s_mul_i32 s12, s3, s13
	s_wait_kmcnt 0x0
	s_load_b64 s[10:11], s[4:5], 0x8
	s_mul_hi_u32 s5, s2, s13
	s_mul_i32 s4, s2, s13
	s_delay_alu instid0(SALU_CYCLE_1) | instskip(NEXT) | instid1(SALU_CYCLE_1)
	s_add_nc_u64 s[4:5], s[8:9], s[4:5]
	s_add_co_u32 s4, s4, s15
	s_add_co_ci_u32 s8, s5, s14
	s_add_co_ci_u32 s13, s16, 0
	s_delay_alu instid0(SALU_CYCLE_1) | instskip(NEXT) | instid1(SALU_CYCLE_1)
	s_add_nc_u64 s[4:5], s[8:9], s[12:13]
	v_add_co_u32 v1, s2, s2, s4
	s_delay_alu instid0(VALU_DEP_1) | instskip(SKIP_1) | instid1(VALU_DEP_1)
	s_cmp_lg_u32 s2, 0
	s_add_co_ci_u32 s12, s3, s5
	v_readfirstlane_b32 s13, v1
	s_wait_kmcnt 0x0
	s_add_nc_u64 s[2:3], s[10:11], -1
	s_wait_alu 0xfffe
	s_mul_hi_u32 s5, s2, s12
	s_mul_i32 s4, s2, s12
	s_mul_hi_u32 s8, s2, s13
	s_mul_hi_u32 s15, s3, s13
	s_mul_i32 s13, s3, s13
	s_wait_alu 0xfffe
	s_add_nc_u64 s[4:5], s[8:9], s[4:5]
	s_mul_hi_u32 s14, s3, s12
	s_wait_alu 0xfffe
	s_add_co_u32 s4, s4, s13
	s_add_co_ci_u32 s8, s5, s15
	s_mul_i32 s12, s3, s12
	s_add_co_ci_u32 s13, s14, 0
	s_delay_alu instid0(SALU_CYCLE_1) | instskip(NEXT) | instid1(SALU_CYCLE_1)
	s_add_nc_u64 s[12:13], s[8:9], s[12:13]
	s_mul_u64 s[4:5], s[12:13], 24
	s_wait_alu 0xfffe
	v_sub_co_u32 v1, s2, s2, s4
	s_delay_alu instid0(VALU_DEP_1) | instskip(SKIP_1) | instid1(VALU_DEP_1)
	s_cmp_lg_u32 s2, 0
	s_sub_co_ci_u32 s8, s3, s5
	v_sub_co_u32 v2, s4, v1, 24
	s_delay_alu instid0(VALU_DEP_1) | instskip(SKIP_2) | instid1(VALU_DEP_2)
	s_cmp_lg_u32 s4, 0
	v_readfirstlane_b32 s15, v1
	s_sub_co_ci_u32 s4, s8, 0
	v_readfirstlane_b32 s2, v2
	s_delay_alu instid0(VALU_DEP_1)
	s_cmp_gt_u32 s2, 23
	s_add_nc_u64 s[2:3], s[12:13], 1
	s_cselect_b32 s14, -1, 0
	s_wait_alu 0xfffe
	s_cmp_eq_u32 s4, 0
	s_add_nc_u64 s[4:5], s[12:13], 2
	s_cselect_b32 s14, s14, -1
	s_delay_alu instid0(SALU_CYCLE_1)
	s_cmp_lg_u32 s14, 0
	s_wait_alu 0xfffe
	s_cselect_b32 s14, s4, s2
	s_cselect_b32 s16, s5, s3
	s_cmp_gt_u32 s15, 23
	s_load_b64 s[2:3], s[0:1], 0x50
	s_cselect_b32 s4, -1, 0
	s_cmp_eq_u32 s8, 0
	s_wait_alu 0xfffe
	s_cselect_b32 s8, s4, -1
	s_load_b64 s[4:5], s[6:7], 0x0
	s_cmp_lg_u32 s8, 0
	s_mov_b32 s8, ttmp9
	s_cselect_b32 s13, s16, s13
	s_cselect_b32 s12, s14, s12
	s_mov_b64 s[14:15], 0
	s_add_nc_u64 s[12:13], s[12:13], 1
	s_wait_kmcnt 0x0
	v_cmp_lt_u64_e64 s5, s[8:9], s[12:13]
	s_delay_alu instid0(VALU_DEP_1)
	s_and_b32 vcc_lo, exec_lo, s5
	s_cbranch_vccnz .LBB0_2
; %bb.1:
	v_cvt_f32_u32_e32 v1, s12
	s_sub_co_i32 s14, 0, s12
	s_delay_alu instid0(VALU_DEP_1) | instskip(NEXT) | instid1(TRANS32_DEP_1)
	v_rcp_iflag_f32_e32 v1, v1
	v_mul_f32_e32 v1, 0x4f7ffffe, v1
	s_delay_alu instid0(VALU_DEP_1) | instskip(NEXT) | instid1(VALU_DEP_1)
	v_cvt_u32_f32_e32 v1, v1
	v_readfirstlane_b32 s5, v1
	s_delay_alu instid0(VALU_DEP_1) | instskip(NEXT) | instid1(SALU_CYCLE_1)
	s_mul_i32 s14, s14, s5
	s_mul_hi_u32 s14, s5, s14
	s_delay_alu instid0(SALU_CYCLE_1)
	s_add_co_i32 s5, s5, s14
	s_wait_alu 0xfffe
	s_mul_hi_u32 s5, s8, s5
	s_wait_alu 0xfffe
	s_mul_i32 s14, s5, s12
	s_add_co_i32 s15, s5, 1
	s_sub_co_i32 s14, s8, s14
	s_delay_alu instid0(SALU_CYCLE_1)
	s_sub_co_i32 s16, s14, s12
	s_cmp_ge_u32 s14, s12
	s_cselect_b32 s5, s15, s5
	s_cselect_b32 s14, s16, s14
	s_wait_alu 0xfffe
	s_add_co_i32 s15, s5, 1
	s_cmp_ge_u32 s14, s12
	s_cselect_b32 s14, s15, s5
	s_mov_b32 s15, s9
.LBB0_2:
	v_mul_u32_u24_e32 v1, 0xaab, v0
	s_load_b128 s[16:19], s[6:7], 0x8
	s_mul_u64 s[6:7], s[14:15], s[12:13]
	v_mov_b32_e32 v6, 0
	s_sub_nc_u64 s[6:7], s[8:9], s[6:7]
	v_lshrrev_b32_e32 v29, 16, v1
	s_mul_u64 s[6:7], s[6:7], 24
	s_delay_alu instid0(SALU_CYCLE_1) | instskip(SKIP_3) | instid1(VALU_DEP_1)
	s_add_nc_u64 s[8:9], s[6:7], 24
	s_wait_alu 0xfffe
	v_cmp_le_u64_e64 s5, s[8:9], s[10:11]
	v_mul_lo_u16 v1, v29, 24
	v_sub_nc_u16 v1, v0, v1
	s_delay_alu instid0(VALU_DEP_1) | instskip(SKIP_1) | instid1(VALU_DEP_1)
	v_and_b32_e32 v32, 0xffff, v1
	s_wait_kmcnt 0x0
	v_mad_co_u64_u32 v[1:2], null, s16, v32, 0
	s_delay_alu instid0(VALU_DEP_1) | instskip(NEXT) | instid1(VALU_DEP_1)
	v_mov_b32_e32 v4, v2
	v_mad_co_u64_u32 v[4:5], null, s17, v32, v[4:5]
	v_mov_b32_e32 v5, 0
	v_add_co_u32 v2, s8, s6, v32
	s_wait_alu 0xf1ff
	v_add_co_ci_u32_e64 v3, null, s7, 0, s8
	v_mov_b32_e32 v4, 0
	s_mul_u64 s[6:7], s[6:7], s[16:17]
	s_mul_u64 s[8:9], s[18:19], s[14:15]
	s_delay_alu instid0(VALU_DEP_2)
	v_cmp_gt_u64_e32 vcc_lo, s[10:11], v[2:3]
	s_wait_alu 0xfffe
	s_add_nc_u64 s[6:7], s[8:9], s[6:7]
	s_or_b32 s5, s5, vcc_lo
	s_wait_alu 0xfffe
	s_and_saveexec_b32 s7, s5
	s_cbranch_execz .LBB0_4
; %bb.3:
	v_mul_lo_u32 v3, s4, v29
	v_mov_b32_e32 v6, 0
	s_delay_alu instid0(VALU_DEP_2) | instskip(NEXT) | instid1(VALU_DEP_1)
	v_add3_u32 v5, s6, v1, v3
	v_lshlrev_b64_e32 v[5:6], 3, v[5:6]
	s_delay_alu instid0(VALU_DEP_1) | instskip(NEXT) | instid1(VALU_DEP_2)
	v_add_co_u32 v5, vcc_lo, s2, v5
	v_add_co_ci_u32_e32 v6, vcc_lo, s3, v6, vcc_lo
	global_load_b64 v[5:6], v[5:6], off
.LBB0_4:
	s_wait_alu 0xfffe
	s_or_b32 exec_lo, exec_lo, s7
	v_dual_mov_b32 v3, 0 :: v_dual_add_nc_u32 v30, 24, v29
	s_and_saveexec_b32 s7, s5
	s_cbranch_execz .LBB0_6
; %bb.5:
	s_delay_alu instid0(VALU_DEP_1) | instskip(SKIP_1) | instid1(VALU_DEP_2)
	v_mul_lo_u32 v3, s4, v30
	v_mov_b32_e32 v4, 0
	v_add3_u32 v3, s6, v1, v3
	s_delay_alu instid0(VALU_DEP_1) | instskip(NEXT) | instid1(VALU_DEP_1)
	v_lshlrev_b64_e32 v[3:4], 3, v[3:4]
	v_add_co_u32 v3, vcc_lo, s2, v3
	s_wait_alu 0xfffd
	s_delay_alu instid0(VALU_DEP_2)
	v_add_co_ci_u32_e32 v4, vcc_lo, s3, v4, vcc_lo
	global_load_b64 v[3:4], v[3:4], off
.LBB0_6:
	s_wait_alu 0xfffe
	s_or_b32 exec_lo, exec_lo, s7
	v_dual_mov_b32 v8, 0 :: v_dual_mov_b32 v9, 0
	v_mov_b32_e32 v10, 0
	s_and_saveexec_b32 s7, s5
	s_cbranch_execz .LBB0_8
; %bb.7:
	v_or_b32_e32 v7, 48, v29
	v_mov_b32_e32 v10, 0
	s_delay_alu instid0(VALU_DEP_2) | instskip(NEXT) | instid1(VALU_DEP_1)
	v_mul_lo_u32 v7, s4, v7
	v_add3_u32 v9, s6, v1, v7
	s_delay_alu instid0(VALU_DEP_1) | instskip(NEXT) | instid1(VALU_DEP_1)
	v_lshlrev_b64_e32 v[9:10], 3, v[9:10]
	v_add_co_u32 v9, vcc_lo, s2, v9
	s_wait_alu 0xfffd
	s_delay_alu instid0(VALU_DEP_2)
	v_add_co_ci_u32_e32 v10, vcc_lo, s3, v10, vcc_lo
	global_load_b64 v[9:10], v[9:10], off
.LBB0_8:
	s_wait_alu 0xfffe
	s_or_b32 exec_lo, exec_lo, s7
	v_mov_b32_e32 v7, 0
	s_and_saveexec_b32 s7, s5
	s_cbranch_execz .LBB0_10
; %bb.9:
	v_dual_mov_b32 v8, 0 :: v_dual_add_nc_u32 v7, 0x48, v29
	s_delay_alu instid0(VALU_DEP_1) | instskip(NEXT) | instid1(VALU_DEP_1)
	v_mul_lo_u32 v7, s4, v7
	v_add3_u32 v7, s6, v1, v7
	s_delay_alu instid0(VALU_DEP_1) | instskip(NEXT) | instid1(VALU_DEP_1)
	v_lshlrev_b64_e32 v[7:8], 3, v[7:8]
	v_add_co_u32 v7, vcc_lo, s2, v7
	s_wait_alu 0xfffd
	s_delay_alu instid0(VALU_DEP_2)
	v_add_co_ci_u32_e32 v8, vcc_lo, s3, v8, vcc_lo
	global_load_b64 v[7:8], v[7:8], off
.LBB0_10:
	s_wait_alu 0xfffe
	s_or_b32 exec_lo, exec_lo, s7
	v_dual_mov_b32 v12, 0 :: v_dual_add_nc_u32 v27, 8, v29
	v_dual_mov_b32 v14, 0 :: v_dual_mov_b32 v13, 0
	s_and_saveexec_b32 s7, s5
	s_cbranch_execz .LBB0_12
; %bb.11:
	s_delay_alu instid0(VALU_DEP_2) | instskip(SKIP_1) | instid1(VALU_DEP_2)
	v_mul_lo_u32 v11, s4, v27
	v_mov_b32_e32 v14, 0
	v_add3_u32 v13, s6, v1, v11
	s_delay_alu instid0(VALU_DEP_1) | instskip(NEXT) | instid1(VALU_DEP_1)
	v_lshlrev_b64_e32 v[13:14], 3, v[13:14]
	v_add_co_u32 v13, vcc_lo, s2, v13
	s_wait_alu 0xfffd
	s_delay_alu instid0(VALU_DEP_2)
	v_add_co_ci_u32_e32 v14, vcc_lo, s3, v14, vcc_lo
	global_load_b64 v[13:14], v[13:14], off
.LBB0_12:
	s_wait_alu 0xfffe
	s_or_b32 exec_lo, exec_lo, s7
	v_or_b32_e32 v31, 32, v29
	v_mov_b32_e32 v11, 0
	s_and_saveexec_b32 s7, s5
	s_cbranch_execz .LBB0_14
; %bb.13:
	s_delay_alu instid0(VALU_DEP_2) | instskip(SKIP_1) | instid1(VALU_DEP_2)
	v_mul_lo_u32 v11, s4, v31
	v_mov_b32_e32 v12, 0
	v_add3_u32 v11, s6, v1, v11
	s_delay_alu instid0(VALU_DEP_1) | instskip(NEXT) | instid1(VALU_DEP_1)
	v_lshlrev_b64_e32 v[11:12], 3, v[11:12]
	v_add_co_u32 v11, vcc_lo, s2, v11
	s_wait_alu 0xfffd
	s_delay_alu instid0(VALU_DEP_2)
	v_add_co_ci_u32_e32 v12, vcc_lo, s3, v12, vcc_lo
	global_load_b64 v[11:12], v[11:12], off
.LBB0_14:
	s_wait_alu 0xfffe
	s_or_b32 exec_lo, exec_lo, s7
	v_dual_mov_b32 v16, 0 :: v_dual_mov_b32 v17, 0
	v_mov_b32_e32 v18, 0
	s_and_saveexec_b32 s7, s5
	s_cbranch_execz .LBB0_16
; %bb.15:
	v_dual_mov_b32 v18, 0 :: v_dual_add_nc_u32 v15, 56, v29
	s_delay_alu instid0(VALU_DEP_1) | instskip(NEXT) | instid1(VALU_DEP_1)
	v_mul_lo_u32 v15, s4, v15
	v_add3_u32 v17, s6, v1, v15
	s_delay_alu instid0(VALU_DEP_1) | instskip(NEXT) | instid1(VALU_DEP_1)
	v_lshlrev_b64_e32 v[17:18], 3, v[17:18]
	v_add_co_u32 v17, vcc_lo, s2, v17
	s_wait_alu 0xfffd
	s_delay_alu instid0(VALU_DEP_2)
	v_add_co_ci_u32_e32 v18, vcc_lo, s3, v18, vcc_lo
	global_load_b64 v[17:18], v[17:18], off
.LBB0_16:
	s_wait_alu 0xfffe
	s_or_b32 exec_lo, exec_lo, s7
	v_mov_b32_e32 v15, 0
	s_and_saveexec_b32 s7, s5
	s_cbranch_execz .LBB0_18
; %bb.17:
	v_or_b32_e32 v15, 0x50, v29
	v_mov_b32_e32 v16, 0
	s_delay_alu instid0(VALU_DEP_2) | instskip(NEXT) | instid1(VALU_DEP_1)
	v_mul_lo_u32 v15, s4, v15
	v_add3_u32 v15, s6, v1, v15
	s_delay_alu instid0(VALU_DEP_1) | instskip(NEXT) | instid1(VALU_DEP_1)
	v_lshlrev_b64_e32 v[15:16], 3, v[15:16]
	v_add_co_u32 v15, vcc_lo, s2, v15
	s_wait_alu 0xfffd
	s_delay_alu instid0(VALU_DEP_2)
	v_add_co_ci_u32_e32 v16, vcc_lo, s3, v16, vcc_lo
	global_load_b64 v[15:16], v[15:16], off
.LBB0_18:
	s_wait_alu 0xfffe
	s_or_b32 exec_lo, exec_lo, s7
	v_or_b32_e32 v28, 16, v29
	v_dual_mov_b32 v20, 0 :: v_dual_mov_b32 v21, 0
	v_mov_b32_e32 v22, 0
	s_and_saveexec_b32 s7, s5
	s_cbranch_execz .LBB0_20
; %bb.19:
	v_mul_lo_u32 v19, s4, v28
	v_mov_b32_e32 v22, 0
	s_delay_alu instid0(VALU_DEP_2) | instskip(NEXT) | instid1(VALU_DEP_1)
	v_add3_u32 v21, s6, v1, v19
	v_lshlrev_b64_e32 v[21:22], 3, v[21:22]
	s_delay_alu instid0(VALU_DEP_1) | instskip(SKIP_1) | instid1(VALU_DEP_2)
	v_add_co_u32 v21, vcc_lo, s2, v21
	s_wait_alu 0xfffd
	v_add_co_ci_u32_e32 v22, vcc_lo, s3, v22, vcc_lo
	global_load_b64 v[21:22], v[21:22], off
.LBB0_20:
	s_wait_alu 0xfffe
	s_or_b32 exec_lo, exec_lo, s7
	v_add_nc_u32_e32 v33, 40, v29
	v_mov_b32_e32 v19, 0
	s_and_saveexec_b32 s7, s5
	s_cbranch_execz .LBB0_22
; %bb.21:
	s_delay_alu instid0(VALU_DEP_2) | instskip(SKIP_1) | instid1(VALU_DEP_2)
	v_mul_lo_u32 v19, s4, v33
	v_mov_b32_e32 v20, 0
	v_add3_u32 v19, s6, v1, v19
	s_delay_alu instid0(VALU_DEP_1) | instskip(NEXT) | instid1(VALU_DEP_1)
	v_lshlrev_b64_e32 v[19:20], 3, v[19:20]
	v_add_co_u32 v19, vcc_lo, s2, v19
	s_wait_alu 0xfffd
	s_delay_alu instid0(VALU_DEP_2)
	v_add_co_ci_u32_e32 v20, vcc_lo, s3, v20, vcc_lo
	global_load_b64 v[19:20], v[19:20], off
.LBB0_22:
	s_wait_alu 0xfffe
	s_or_b32 exec_lo, exec_lo, s7
	s_load_b64 s[8:9], s[0:1], 0x0
	v_dual_mov_b32 v24, 0 :: v_dual_mov_b32 v25, 0
	v_mov_b32_e32 v26, 0
	s_and_saveexec_b32 s7, s5
	s_cbranch_execz .LBB0_24
; %bb.23:
	v_or_b32_e32 v23, 64, v29
	v_mov_b32_e32 v26, 0
	s_delay_alu instid0(VALU_DEP_2) | instskip(NEXT) | instid1(VALU_DEP_1)
	v_mul_lo_u32 v23, s4, v23
	v_add3_u32 v25, s6, v1, v23
	s_delay_alu instid0(VALU_DEP_1) | instskip(NEXT) | instid1(VALU_DEP_1)
	v_lshlrev_b64_e32 v[25:26], 3, v[25:26]
	v_add_co_u32 v25, vcc_lo, s2, v25
	s_wait_alu 0xfffd
	s_delay_alu instid0(VALU_DEP_2)
	v_add_co_ci_u32_e32 v26, vcc_lo, s3, v26, vcc_lo
	global_load_b64 v[25:26], v[25:26], off
.LBB0_24:
	s_wait_alu 0xfffe
	s_or_b32 exec_lo, exec_lo, s7
	v_mov_b32_e32 v23, 0
	s_and_saveexec_b32 s7, s5
	s_cbranch_execz .LBB0_26
; %bb.25:
	v_dual_mov_b32 v24, 0 :: v_dual_add_nc_u32 v23, 0x58, v29
	s_delay_alu instid0(VALU_DEP_1) | instskip(NEXT) | instid1(VALU_DEP_1)
	v_mul_lo_u32 v23, s4, v23
	v_add3_u32 v23, s6, v1, v23
	s_delay_alu instid0(VALU_DEP_1) | instskip(NEXT) | instid1(VALU_DEP_1)
	v_lshlrev_b64_e32 v[23:24], 3, v[23:24]
	v_add_co_u32 v23, vcc_lo, s2, v23
	s_wait_alu 0xfffd
	s_delay_alu instid0(VALU_DEP_2)
	v_add_co_ci_u32_e32 v24, vcc_lo, s3, v24, vcc_lo
	global_load_b64 v[23:24], v[23:24], off
.LBB0_26:
	s_wait_alu 0xfffe
	s_or_b32 exec_lo, exec_lo, s7
	s_wait_loadcnt 0x0
	v_dual_sub_f32 v34, v5, v9 :: v_dual_sub_f32 v9, v3, v7
	v_dual_sub_f32 v35, v6, v10 :: v_dual_sub_f32 v36, v11, v15
	;; [unrolled: 1-line block ×3, first 2 shown]
	s_delay_alu instid0(VALU_DEP_3) | instskip(NEXT) | instid1(VALU_DEP_3)
	v_fma_f32 v5, v5, 2.0, -v34
	v_fma_f32 v6, v6, 2.0, -v35
	;; [unrolled: 1-line block ×3, first 2 shown]
	s_delay_alu instid0(VALU_DEP_4)
	v_fma_f32 v4, v4, 2.0, -v7
	v_sub_f32_e32 v17, v13, v17
	v_fma_f32 v14, v14, 2.0, -v18
	v_sub_f32_e32 v15, v12, v16
	;; [unrolled: 2-line block ×3, first 2 shown]
	v_fma_f32 v16, v13, 2.0, -v17
	v_dual_sub_f32 v3, v5, v3 :: v_dual_add_f32 v8, v35, v9
	v_fma_f32 v11, v12, 2.0, -v15
	v_dual_sub_f32 v7, v34, v7 :: v_dual_sub_f32 v24, v20, v24
	s_delay_alu instid0(VALU_DEP_4) | instskip(SKIP_1) | instid1(VALU_DEP_4)
	v_sub_f32_e32 v9, v16, v10
	v_sub_f32_e32 v26, v22, v26
	;; [unrolled: 1-line block ×4, first 2 shown]
	v_fma_f32 v12, v35, 2.0, -v8
	v_fma_f32 v20, v20, 2.0, -v24
	;; [unrolled: 1-line block ×3, first 2 shown]
	v_sub_f32_e32 v25, v21, v25
	v_fma_f32 v11, v34, 2.0, -v7
	v_fma_f32 v15, v16, 2.0, -v9
	;; [unrolled: 1-line block ×3, first 2 shown]
	v_sub_f32_e32 v20, v35, v20
	v_fma_f32 v34, v21, 2.0, -v25
	v_mul_u32_u24_e32 v21, 0x60, v29
	v_dual_add_f32 v14, v18, v36 :: v_dual_sub_f32 v23, v19, v23
	v_fma_f32 v5, v5, 2.0, -v3
	v_fma_f32 v6, v6, 2.0, -v4
	s_delay_alu instid0(VALU_DEP_4) | instskip(NEXT) | instid1(VALU_DEP_4)
	v_lshlrev_b32_e32 v36, 3, v21
	v_dual_add_f32 v22, v26, v23 :: v_dual_lshlrev_b32 v37, 3, v32
	v_fma_f32 v19, v19, 2.0, -v23
	v_sub_f32_e32 v21, v25, v24
	v_fma_f32 v17, v17, 2.0, -v13
	s_delay_alu instid0(VALU_DEP_4)
	v_add3_u32 v32, 0, v36, v37
	v_fma_f32 v18, v18, 2.0, -v14
	v_sub_f32_e32 v19, v34, v19
	v_fma_f32 v24, v35, 2.0, -v20
	v_fma_f32 v26, v26, 2.0, -v22
	ds_store_2addr_b64 v32, v[5:6], v[11:12] offset1:24
	v_and_b32_e32 v6, 3, v29
	v_fma_f32 v23, v34, 2.0, -v19
	v_add_nc_u32_e32 v34, 0x1800, v32
	ds_store_2addr_b64 v32, v[3:4], v[7:8] offset0:48 offset1:72
	v_fma_f32 v25, v25, 2.0, -v21
	v_lshlrev_b32_e32 v3, 3, v6
	v_add_nc_u32_e32 v5, 0x3000, v32
	ds_store_2addr_b64 v34, v[15:16], v[17:18] offset1:24
	ds_store_2addr_b64 v34, v[9:10], v[13:14] offset0:48 offset1:72
	ds_store_2addr_b64 v5, v[23:24], v[25:26] offset1:24
	ds_store_2addr_b64 v5, v[19:20], v[21:22] offset0:48 offset1:72
	global_wb scope:SCOPE_SE
	s_wait_dscnt 0x0
	s_wait_kmcnt 0x0
	s_barrier_signal -1
	s_barrier_wait -1
	global_inv scope:SCOPE_SE
	global_load_b64 v[3:4], v3, s[8:9]
	v_lshlrev_b32_e32 v5, 1, v29
	v_lshlrev_b32_e32 v9, 1, v27
	;; [unrolled: 1-line block ×6, first 2 shown]
	v_and_or_b32 v5, v5, 24, v6
	v_and_or_b32 v9, v9, 56, v6
	;; [unrolled: 1-line block ×4, first 2 shown]
	v_mul_i32_i24_e32 v7, 0xfffffdc0, v27
	v_mul_i32_i24_e32 v8, 0xfffffdc0, v28
	v_and_or_b32 v12, 0x78, v12, v6
	v_and_or_b32 v6, 0x78, v13, v6
	v_mul_u32_u24_e32 v13, 0xc0, v5
	v_mul_u32_u24_e32 v9, 0xc0, v9
	v_mul_u32_u24_e32 v10, 0xc0, v10
	v_mul_u32_u24_e32 v11, 0xc0, v11
	v_mad_i32_i24 v5, 0xfffffdc0, v29, v32
	v_mul_u32_u24_e32 v14, 0xc0, v6
	v_add3_u32 v6, 0x1800, v32, v7
	v_add3_u32 v7, 0x3000, v32, v8
	;; [unrolled: 1-line block ×5, first 2 shown]
	ds_load_2addr_stride64_b64 v[8:11], v5 offset1:18
	v_mul_u32_u24_e32 v12, 0xc0, v12
	v_add3_u32 v39, 0, v13, v37
	v_add3_u32 v44, 0, v14, v37
	s_delay_alu instid0(VALU_DEP_3)
	v_add3_u32 v43, 0, v12, v37
	ds_load_2addr_stride64_b64 v[12:15], v5 offset0:21 offset1:24
	ds_load_b64 v[20:21], v7
	ds_load_b32 v45, v7 offset:1536
	ds_load_2addr_stride64_b64 v[16:19], v5 offset0:27 offset1:30
	ds_load_b32 v46, v7 offset:3072
	ds_load_b64 v[22:23], v7 offset:3072
	ds_load_b64 v[24:25], v6
	ds_load_b64 v[31:32], v5 offset:16896
	ds_load_b32 v47, v7 offset:1540
	ds_load_b64 v[33:34], v7 offset:1536
	ds_load_b32 v48, v7 offset:3076
	ds_load_b32 v49, v7 offset:4608
	;; [unrolled: 1-line block ×3, first 2 shown]
	ds_load_b64 v[35:36], v7 offset:4608
	v_and_b32_e32 v26, 7, v29
	global_wb scope:SCOPE_SE
	s_wait_loadcnt_dscnt 0x0
	s_barrier_signal -1
	s_barrier_wait -1
	global_inv scope:SCOPE_SE
	v_mul_f32_e32 v55, v4, v15
	v_mul_f32_e32 v51, v4, v11
	;; [unrolled: 1-line block ×6, first 2 shown]
	v_dual_mul_f32 v57, v4, v17 :: v_dual_lshlrev_b32 v38, 4, v26
	v_mul_f32_e32 v58, v4, v16
	s_delay_alu instid0(VALU_DEP_4)
	v_dual_mul_f32 v59, v4, v19 :: v_dual_fmac_f32 v54, v3, v13
	v_mul_f32_e32 v60, v4, v18
	v_dual_mul_f32 v61, v4, v32 :: v_dual_fmac_f32 v52, v3, v11
	v_mul_f32_e32 v32, v3, v32
	v_fma_f32 v10, v3, v10, -v51
	v_fma_f32 v11, v3, v12, -v53
	v_fmac_f32_e32 v56, v3, v15
	v_fma_f32 v12, v3, v14, -v55
	v_fma_f32 v14, v3, v16, -v57
	v_fmac_f32_e32 v58, v3, v17
	v_fma_f32 v16, v3, v18, -v59
	v_fmac_f32_e32 v60, v3, v19
	v_fma_f32 v18, v3, v31, -v61
	v_sub_f32_e32 v3, v8, v10
	v_dual_sub_f32 v13, v21, v56 :: v_dual_sub_f32 v10, v24, v11
	s_delay_alu instid0(VALU_DEP_4) | instskip(SKIP_3) | instid1(VALU_DEP_3)
	v_sub_f32_e32 v17, v23, v60
	v_dual_sub_f32 v11, v25, v54 :: v_dual_fmac_f32 v32, v4, v31
	v_dual_sub_f32 v15, v34, v58 :: v_dual_sub_f32 v4, v9, v52
	v_sub_f32_e32 v12, v20, v12
	v_dual_sub_f32 v14, v33, v14 :: v_dual_sub_f32 v19, v36, v32
	v_sub_f32_e32 v16, v22, v16
	v_sub_f32_e32 v18, v35, v18
	v_fma_f32 v8, v8, 2.0, -v3
	v_fma_f32 v9, v9, 2.0, -v4
	;; [unrolled: 1-line block ×12, first 2 shown]
	ds_store_2addr_b64 v39, v[8:9], v[3:4] offset1:96
	ds_store_2addr_b64 v40, v[22:23], v[10:11] offset1:96
	;; [unrolled: 1-line block ×6, first 2 shown]
	global_wb scope:SCOPE_SE
	s_wait_dscnt 0x0
	s_barrier_signal -1
	s_barrier_wait -1
	global_inv scope:SCOPE_SE
	global_load_b128 v[8:11], v38, s[8:9] offset:32
	v_lshrrev_b32_e32 v3, 3, v29
	v_lshrrev_b32_e32 v4, 3, v27
	;; [unrolled: 1-line block ×4, first 2 shown]
	ds_load_2addr_stride64_b64 v[30:33], v5 offset0:30 offset1:33
	v_mul_u32_u24_e32 v3, 24, v3
	v_mul_u32_u24_e32 v4, 24, v4
	;; [unrolled: 1-line block ×4, first 2 shown]
	s_delay_alu instid0(VALU_DEP_4) | instskip(NEXT) | instid1(VALU_DEP_4)
	v_or_b32_e32 v3, v3, v26
	v_or_b32_e32 v14, v4, v26
	s_delay_alu instid0(VALU_DEP_4) | instskip(NEXT) | instid1(VALU_DEP_4)
	v_or_b32_e32 v16, v12, v26
	v_or_b32_e32 v20, v13, v26
	s_delay_alu instid0(VALU_DEP_4) | instskip(NEXT) | instid1(VALU_DEP_4)
	v_mul_u32_u24_e32 v21, 0xc0, v3
	v_mul_u32_u24_e32 v24, 0xc0, v14
	ds_load_2addr_stride64_b64 v[12:15], v5 offset0:24 offset1:27
	v_mul_u32_u24_e32 v25, 0xc0, v16
	ds_load_2addr_stride64_b64 v[16:19], v5 offset1:15
	v_mul_u32_u24_e32 v26, 0xc0, v20
	v_add3_u32 v38, 0, v21, v37
	ds_load_2addr_stride64_b64 v[20:23], v5 offset0:18 offset1:21
	ds_load_b64 v[3:4], v7 offset:3072
	v_add_nc_u32_e32 v36, 0x400, v7
	v_add3_u32 v39, 0, v24, v37
	v_add3_u32 v40, 0, v25, v37
	;; [unrolled: 1-line block ×3, first 2 shown]
	s_wait_loadcnt_dscnt 0x1
	v_dual_mul_f32 v49, v9, v21 :: v_dual_mul_f32 v44, v11, v12
	v_mul_f32_e32 v53, v9, v23
	v_dual_mul_f32 v46, v9, v18 :: v_dual_mul_f32 v51, v11, v31
	v_dual_mul_f32 v48, v11, v14 :: v_dual_mul_f32 v55, v32, v11
	ds_load_b64 v[24:25], v6
	ds_load_b64 v[34:35], v7
	ds_load_2addr_b32 v[36:37], v36 offset0:128 offset1:129
	v_mul_f32_e32 v43, v11, v13
	v_mul_f32_e32 v45, v9, v19
	v_dual_mul_f32 v47, v11, v15 :: v_dual_fmac_f32 v44, v10, v13
	v_fmac_f32_e32 v55, v33, v10
	v_mul_f32_e32 v52, v11, v30
	v_fmac_f32_e32 v46, v8, v19
	v_fma_f32 v13, v8, v20, -v49
	v_fmac_f32_e32 v48, v10, v15
	s_wait_dscnt 0x3
	v_mul_f32_e32 v42, v9, v3
	v_mul_f32_e32 v41, v9, v4
	;; [unrolled: 1-line block ×3, first 2 shown]
	v_fmac_f32_e32 v52, v10, v31
	v_sub_f32_e32 v31, v46, v48
	v_dual_mul_f32 v9, v9, v22 :: v_dual_fmac_f32 v42, v8, v4
	v_mul_f32_e32 v54, v33, v11
	v_fma_f32 v4, v10, v12, -v43
	v_fma_f32 v11, v8, v18, -v45
	;; [unrolled: 1-line block ×5, first 2 shown]
	v_fmac_f32_e32 v9, v8, v23
	v_fma_f32 v15, v8, v22, -v53
	v_sub_f32_e32 v41, v11, v12
	v_dual_add_f32 v43, v13, v14 :: v_dual_fmac_f32 v50, v8, v21
	v_add_f32_e32 v33, v46, v48
	v_add_f32_e32 v21, v42, v44
	v_fma_f32 v18, v32, v10, -v54
	s_wait_dscnt 0x2
	v_dual_add_f32 v10, v3, v4 :: v_dual_add_f32 v23, v24, v11
	v_dual_sub_f32 v49, v13, v14 :: v_dual_add_f32 v8, v16, v3
	v_dual_sub_f32 v45, v50, v52 :: v_dual_add_f32 v32, v25, v46
	v_dual_add_f32 v30, v11, v12 :: v_dual_fmac_f32 v25, -0.5, v33
	v_dual_add_f32 v20, v17, v42 :: v_dual_add_f32 v47, v50, v52
	v_sub_f32_e32 v19, v42, v44
	v_dual_sub_f32 v22, v3, v4 :: v_dual_sub_f32 v53, v9, v55
	s_wait_dscnt 0x1
	v_dual_add_f32 v42, v34, v13 :: v_dual_add_f32 v51, v15, v18
	v_dual_add_f32 v56, v9, v55 :: v_dual_add_f32 v3, v8, v4
	;; [unrolled: 1-line block ×3, first 2 shown]
	s_wait_dscnt 0x0
	v_add_f32_e32 v54, v37, v9
	v_fma_f32 v8, -0.5, v10, v16
	v_fma_f32 v9, -0.5, v21, v17
	v_dual_add_f32 v13, v46, v52 :: v_dual_add_f32 v50, v36, v15
	v_sub_f32_e32 v57, v15, v18
	v_fma_f32 v24, -0.5, v30, v24
	v_dual_add_f32 v4, v20, v44 :: v_dual_fmac_f32 v35, -0.5, v47
	v_fma_f32 v34, -0.5, v43, v34
	v_dual_add_f32 v10, v23, v12 :: v_dual_add_f32 v15, v54, v55
	v_fma_f32 v36, -0.5, v51, v36
	v_fmamk_f32 v16, v19, 0x3f5db3d7, v8
	v_fmamk_f32 v17, v22, 0xbf5db3d7, v9
	v_fmac_f32_e32 v9, 0x3f5db3d7, v22
	v_dual_add_f32 v12, v42, v14 :: v_dual_fmac_f32 v37, -0.5, v56
	v_dual_fmac_f32 v8, 0xbf5db3d7, v19 :: v_dual_fmamk_f32 v21, v49, 0xbf5db3d7, v35
	v_dual_add_f32 v14, v50, v18 :: v_dual_fmamk_f32 v19, v41, 0xbf5db3d7, v25
	v_dual_fmamk_f32 v18, v31, 0x3f5db3d7, v24 :: v_dual_fmac_f32 v25, 0x3f5db3d7, v41
	s_delay_alu instid0(VALU_DEP_4)
	v_dual_fmac_f32 v24, 0xbf5db3d7, v31 :: v_dual_fmamk_f32 v23, v57, 0xbf5db3d7, v37
	v_dual_fmamk_f32 v20, v45, 0x3f5db3d7, v34 :: v_dual_fmac_f32 v35, 0x3f5db3d7, v49
	global_wb scope:SCOPE_SE
	s_barrier_signal -1
	s_barrier_wait -1
	global_inv scope:SCOPE_SE
	v_fmac_f32_e32 v34, 0xbf5db3d7, v45
	v_dual_fmamk_f32 v22, v53, 0x3f5db3d7, v36 :: v_dual_fmac_f32 v37, 0x3f5db3d7, v57
	v_fmac_f32_e32 v36, 0xbf5db3d7, v53
	ds_store_2addr_stride64_b64 v38, v[3:4], v[16:17] offset1:3
	ds_store_b64 v38, v[8:9] offset:3072
	ds_store_2addr_stride64_b64 v39, v[10:11], v[18:19] offset1:3
	ds_store_b64 v39, v[24:25] offset:3072
	;; [unrolled: 2-line block ×4, first 2 shown]
	global_wb scope:SCOPE_SE
	s_wait_dscnt 0x0
	s_barrier_signal -1
	s_barrier_wait -1
	global_inv scope:SCOPE_SE
	s_and_saveexec_b32 s7, s5
	s_cbranch_execz .LBB0_28
; %bb.27:
	v_mul_lo_u16 v3, v27, 11
	v_subrev_nc_u32_e32 v4, 24, v29
	v_cmp_gt_u32_e32 vcc_lo, 0x240, v0
	v_mul_lo_u16 v12, v28, 11
	s_load_b64 s[0:1], s[0:1], 0x8
	v_lshrrev_b16 v26, 8, v3
	v_dual_cndmask_b32 v83, v4, v29 :: v_dual_mov_b32 v4, 0
	s_delay_alu instid0(VALU_DEP_3) | instskip(NEXT) | instid1(VALU_DEP_3)
	v_lshrrev_b16 v84, 8, v12
	v_mul_lo_u16 v8, v26, 24
	s_delay_alu instid0(VALU_DEP_3) | instskip(NEXT) | instid1(VALU_DEP_3)
	v_mul_i32_i24_e32 v3, 3, v83
	v_mul_lo_u16 v16, v84, 24
	s_delay_alu instid0(VALU_DEP_3) | instskip(NEXT) | instid1(VALU_DEP_3)
	v_sub_nc_u16 v10, v27, v8
	v_lshlrev_b64_e32 v[8:9], 3, v[3:4]
	s_delay_alu instid0(VALU_DEP_3) | instskip(NEXT) | instid1(VALU_DEP_3)
	v_sub_nc_u16 v16, v28, v16
	v_and_b32_e32 v3, 0xff, v10
	s_delay_alu instid0(VALU_DEP_3) | instskip(SKIP_1) | instid1(VALU_DEP_4)
	v_add_co_u32 v20, vcc_lo, s8, v8
	s_wait_alu 0xfffd
	v_add_co_ci_u32_e32 v21, vcc_lo, s9, v9, vcc_lo
	s_delay_alu instid0(VALU_DEP_3)
	v_mul_u32_u24_e32 v13, 3, v3
	v_mul_lo_u32 v51, v2, v3
	v_cmp_lt_u32_e32 vcc_lo, 0x23f, v0
	global_load_b128 v[8:11], v[20:21], off offset:160
	v_and_b32_e32 v23, 0xff, v16
	v_lshlrev_b32_e32 v22, 3, v13
	v_add_nc_u32_e32 v0, s6, v1
	s_delay_alu instid0(VALU_DEP_3)
	v_mul_u32_u24_e32 v16, 3, v23
	global_load_b128 v[12:15], v22, s[8:9] offset:160
	v_lshrrev_b32_e32 v75, 5, v51
	v_lshlrev_b32_e32 v29, 3, v16
	s_clause 0x1
	global_load_b128 v[16:19], v29, s[8:9] offset:160
	global_load_b64 v[24:25], v[20:21], off offset:176
	v_add_nc_u32_e32 v20, 0x48, v83
	v_add_nc_u32_e32 v21, 48, v83
	s_clause 0x1
	global_load_b64 v[33:34], v29, s[8:9] offset:176
	global_load_b64 v[35:36], v22, s[8:9] offset:176
	v_add_nc_u32_e32 v29, 24, v83
	v_mul_lo_u32 v20, v2, v20
	v_mul_lo_u32 v21, v2, v21
	v_add_nc_u32_e32 v31, 0x48, v3
	v_add_nc_u32_e32 v32, 48, v3
	v_mul_lo_u32 v29, v2, v29
	s_delay_alu instid0(VALU_DEP_3)
	v_mul_lo_u32 v31, v2, v31
	v_and_b32_e32 v22, 0xff, v20
	v_lshrrev_b32_e32 v20, 5, v20
	v_and_b32_e32 v30, 0xff, v21
	v_lshrrev_b32_e32 v21, 5, v21
	v_mul_lo_u32 v32, v2, v32
	v_lshlrev_b32_e32 v22, 3, v22
	v_and_b32_e32 v20, 0x7f8, v20
	v_lshlrev_b32_e32 v30, 3, v30
	v_and_b32_e32 v21, 0x7f8, v21
	s_wait_kmcnt 0x0
	s_clause 0x3
	global_load_b64 v[37:38], v22, s[0:1]
	global_load_b64 v[39:40], v20, s[0:1] offset:2048
	global_load_b64 v[41:42], v30, s[0:1]
	global_load_b64 v[43:44], v21, s[0:1] offset:2048
	v_and_b32_e32 v20, 0xff, v29
	v_lshrrev_b32_e32 v21, 5, v29
	v_add_nc_u32_e32 v22, 0x48, v23
	v_add_nc_u32_e32 v29, 48, v23
	v_add_nc_u32_e32 v30, 24, v23
	v_lshlrev_b32_e32 v20, 3, v20
	v_and_b32_e32 v21, 0x7f8, v21
	s_clause 0x1
	global_load_b64 v[45:46], v20, s[0:1]
	global_load_b64 v[47:48], v21, s[0:1] offset:2048
	v_mul_lo_u32 v20, v2, v83
	v_add_nc_u32_e32 v49, 24, v3
	v_mul_lo_u32 v23, v2, v23
	v_mul_lo_u32 v22, v2, v22
	v_mul_lo_u32 v29, v2, v29
	v_mul_lo_u32 v30, v2, v30
	v_mul_lo_u32 v52, v2, v49
	v_and_b32_e32 v59, 0xff, v32
	v_and_b32_e32 v21, 0xff, v20
	v_lshrrev_b32_e32 v20, 5, v20
	v_lshrrev_b32_e32 v32, 5, v32
	v_and_b32_e32 v53, 0xff, v29
	s_delay_alu instid0(VALU_DEP_4) | instskip(NEXT) | instid1(VALU_DEP_4)
	v_lshlrev_b32_e32 v21, 3, v21
	v_and_b32_e32 v20, 0x7f8, v20
	s_clause 0x1
	global_load_b64 v[2:3], v21, s[0:1]
	global_load_b64 v[49:50], v20, s[0:1] offset:2048
	v_and_b32_e32 v20, 0xff, v23
	v_lshrrev_b32_e32 v21, 5, v23
	v_and_b32_e32 v23, 0xff, v51
	v_and_b32_e32 v51, 0xff, v22
	v_lshrrev_b32_e32 v22, 5, v22
	v_lshrrev_b32_e32 v29, 5, v29
	v_and_b32_e32 v54, 0xff, v30
	v_and_b32_e32 v55, 0xff, v31
	v_lshlrev_b32_e32 v51, 3, v51
	v_lshlrev_b32_e32 v56, 3, v53
	v_and_b32_e32 v22, 0x7f8, v22
	v_and_b32_e32 v29, 0x7f8, v29
	;; [unrolled: 1-line block ×3, first 2 shown]
	v_lshrrev_b32_e32 v68, 5, v52
	v_lshlrev_b32_e32 v60, 3, v54
	s_clause 0x1
	global_load_b64 v[51:52], v51, s[0:1]
	global_load_b64 v[53:54], v22, s[0:1] offset:2048
	v_lshlrev_b32_e32 v22, 3, v55
	s_clause 0x1
	global_load_b64 v[55:56], v56, s[0:1]
	global_load_b64 v[57:58], v29, s[0:1] offset:2048
	v_lshrrev_b32_e32 v30, 5, v30
	v_lshrrev_b32_e32 v31, 5, v31
	v_lshlrev_b32_e32 v20, 3, v20
	v_and_b32_e32 v21, 0x7f8, v21
	v_lshlrev_b32_e32 v29, 3, v59
	v_and_b32_e32 v30, 0x7f8, v30
	v_and_b32_e32 v31, 0x7f8, v31
	s_clause 0x3
	global_load_b64 v[59:60], v60, s[0:1]
	global_load_b64 v[61:62], v30, s[0:1] offset:2048
	global_load_b64 v[63:64], v20, s[0:1]
	global_load_b64 v[65:66], v21, s[0:1] offset:2048
	v_lshlrev_b32_e32 v20, 3, v67
	v_and_b32_e32 v32, 0x7f8, v32
	v_and_b32_e32 v21, 0x7f8, v68
	v_lshlrev_b32_e32 v23, 3, v23
	s_clause 0x3
	global_load_b64 v[67:68], v22, s[0:1]
	global_load_b64 v[69:70], v31, s[0:1] offset:2048
	global_load_b64 v[71:72], v29, s[0:1]
	global_load_b64 v[73:74], v32, s[0:1] offset:2048
	v_and_b32_e32 v22, 0x7f8, v75
	s_clause 0x3
	global_load_b64 v[75:76], v20, s[0:1]
	global_load_b64 v[77:78], v21, s[0:1] offset:2048
	global_load_b64 v[79:80], v23, s[0:1]
	global_load_b64 v[81:82], v22, s[0:1] offset:2048
	v_add_nc_u32_e32 v20, 0x600, v7
	ds_load_b64 v[29:30], v20
	ds_load_2addr_stride64_b64 v[20:23], v5 offset0:18 offset1:21
	s_wait_loadcnt_dscnt 0x1d01
	v_mul_f32_e32 v31, v9, v30
	s_wait_dscnt 0x0
	v_dual_mul_f32 v85, v9, v29 :: v_dual_mul_f32 v86, v11, v20
	v_mul_f32_e32 v9, v11, v21
	s_delay_alu instid0(VALU_DEP_3) | instskip(NEXT) | instid1(VALU_DEP_3)
	v_fma_f32 v87, v8, v29, -v31
	v_fmac_f32_e32 v85, v8, v30
	ds_load_2addr_stride64_b64 v[29:32], v5 offset0:12 offset1:15
	s_wait_loadcnt 0x1c
	v_mul_f32_e32 v8, v15, v23
	v_fmac_f32_e32 v86, v10, v21
	v_fma_f32 v88, v10, v20, -v9
	v_mul_f32_e32 v89, v15, v22
	s_delay_alu instid0(VALU_DEP_4)
	v_fma_f32 v90, v14, v22, -v8
	ds_load_2addr_stride64_b64 v[8:11], v5 offset0:24 offset1:27
	s_wait_dscnt 0x1
	v_dual_fmac_f32 v89, v14, v23 :: v_dual_mul_f32 v14, v13, v30
	v_mul_f32_e32 v91, v13, v29
	s_wait_loadcnt 0x1b
	v_mul_f32_e32 v13, v32, v17
	s_delay_alu instid0(VALU_DEP_3) | instskip(NEXT) | instid1(VALU_DEP_3)
	v_fma_f32 v29, v12, v29, -v14
	v_dual_fmac_f32 v91, v12, v30 :: v_dual_mul_f32 v30, v31, v17
	s_delay_alu instid0(VALU_DEP_3)
	v_fma_f32 v31, v31, v16, -v13
	ds_load_2addr_stride64_b64 v[12:15], v5 offset0:30 offset1:33
	s_wait_dscnt 0x1
	v_mul_f32_e32 v92, v8, v19
	v_dual_mul_f32 v17, v9, v19 :: v_dual_fmac_f32 v30, v32, v16
	s_wait_loadcnt 0x1a
	v_mul_f32_e32 v94, v25, v10
	s_wait_alu 0xfffd
	v_cndmask_b32_e64 v16, 0, 0x60, vcc_lo
	v_fmac_f32_e32 v92, v9, v18
	v_fma_f32 v32, v8, v18, -v17
	ds_load_b64 v[8:9], v7
	ds_load_b32 v93, v7
	v_mul_f32_e32 v7, v25, v11
	ds_load_b32 v95, v6
	v_fmac_f32_e32 v94, v24, v11
	v_or_b32_e32 v1, v83, v16
	v_and_b32_e32 v18, 0xffff, v26
	v_fma_f32 v96, v24, v10, -v7
	ds_load_b64 v[10:11], v5
	ds_load_b64 v[6:7], v6
	ds_load_b32 v5, v5
	v_and_b32_e32 v19, 0xffff, v84
	v_mad_co_u64_u32 v[16:17], null, s4, v1, v[0:1]
	s_wait_loadcnt_dscnt 0x1906
	v_mul_f32_e32 v17, v15, v34
	v_mul_f32_e32 v34, v14, v34
	v_mad_u32_u24 v83, 0x48, v19, v28
	s_wait_loadcnt 0x18
	v_mul_f32_e32 v19, v13, v36
	v_mad_u32_u24 v22, 0x48, v18, v27
	v_fma_f32 v28, v14, v33, -v17
	v_dual_fmac_f32 v34, v15, v33 :: v_dual_mul_f32 v33, v12, v36
	v_add_nc_u32_e32 v18, 24, v1
	v_add_nc_u32_e32 v14, 48, v1
	v_fma_f32 v36, v12, v35, -v19
	v_add_nc_u32_e32 v1, 0x48, v1
	v_fmac_f32_e32 v33, v13, v35
	s_wait_loadcnt 0x16
	v_mul_f32_e32 v35, v37, v40
	s_wait_loadcnt 0x12
	v_mul_f32_e32 v24, v46, v48
	v_sub_f32_e32 v36, v29, v36
	v_mad_co_u64_u32 v[12:13], null, s4, v18, v[0:1]
	v_mad_co_u64_u32 v[14:15], null, s4, v14, v[0:1]
	v_mul_f32_e32 v13, v38, v40
	v_mad_co_u64_u32 v[18:19], null, s4, v1, v[0:1]
	v_mul_f32_e32 v1, v42, v44
	s_wait_dscnt 0x2
	v_sub_f32_e32 v10, v10, v88
	v_dual_fmac_f32 v35, v38, v39 :: v_dual_mul_f32 v38, v41, v44
	v_fma_f32 v37, v37, v39, -v13
	v_mad_co_u64_u32 v[20:21], null, s4, v22, v[0:1]
	v_fma_f32 v39, v41, v43, -v1
	s_wait_dscnt 0x0
	v_fma_f32 v5, v5, 2.0, -v10
	v_add_nc_u32_e32 v1, 48, v22
	v_dual_fmac_f32 v38, v42, v43 :: v_dual_add_nc_u32 v23, 24, v22
	s_wait_loadcnt 0x10
	v_mul_f32_e32 v42, v2, v50
	v_sub_f32_e32 v43, v11, v86
	v_sub_f32_e32 v44, v87, v96
	v_add_nc_u32_e32 v26, 0x48, v22
	v_fma_f32 v41, v45, v47, -v24
	v_mad_co_u64_u32 v[24:25], null, s4, v1, v[0:1]
	v_dual_mul_f32 v40, v45, v48 :: v_dual_mov_b32 v25, v4
	s_delay_alu instid0(VALU_DEP_4)
	v_mad_co_u64_u32 v[26:27], null, s4, v26, v[0:1]
	v_fmac_f32_e32 v42, v49, v3
	v_sub_f32_e32 v48, v6, v90
	v_sub_f32_e32 v6, v91, v33
	v_mad_co_u64_u32 v[22:23], null, s4, v23, v[0:1]
	v_mul_f32_e32 v1, v3, v50
	v_add_f32_e32 v3, v43, v44
	v_dual_sub_f32 v45, v85, v94 :: v_dual_fmac_f32 v40, v46, v47
	v_fma_f32 v11, v11, 2.0, -v43
	s_delay_alu instid0(VALU_DEP_4) | instskip(SKIP_1) | instid1(VALU_DEP_3)
	v_fma_f32 v46, v2, v49, -v1
	s_wait_loadcnt 0xc
	v_dual_mul_f32 v50, v56, v58 :: v_dual_sub_f32 v1, v10, v45
	v_fma_f32 v44, v87, 2.0, -v44
	v_sub_f32_e32 v47, v9, v92
	v_sub_f32_e32 v28, v31, v28
	;; [unrolled: 1-line block ×3, first 2 shown]
	v_mul_f32_e32 v2, v1, v35
	v_dual_sub_f32 v8, v30, v34 :: v_dual_mul_f32 v33, v3, v35
	v_mul_f32_e32 v49, v51, v54
	s_delay_alu instid0(VALU_DEP_3) | instskip(SKIP_4) | instid1(VALU_DEP_4)
	v_dual_mov_b32 v17, v4 :: v_dual_fmac_f32 v2, v3, v37
	v_fma_f32 v45, v85, 2.0, -v45
	v_dual_mov_b32 v13, v4 :: v_dual_sub_f32 v34, v7, v89
	v_sub_f32_e32 v44, v5, v44
	v_fma_f32 v10, v10, 2.0, -v1
	v_sub_f32_e32 v35, v11, v45
	v_mul_f32_e32 v45, v52, v54
	v_fmac_f32_e32 v49, v52, v53
	s_wait_loadcnt 0xa
	v_mul_f32_e32 v52, v60, v62
	v_fma_f32 v31, v31, 2.0, -v28
	v_add_f32_e32 v28, v47, v28
	v_fma_f32 v45, v51, v53, -v45
	v_mul_f32_e32 v51, v55, v58
	v_lshlrev_b64_e32 v[16:17], 3, v[16:17]
	v_mov_b32_e32 v15, v4
	v_lshlrev_b64_e32 v[12:13], 3, v[12:13]
	v_fma_f32 v43, v43, 2.0, -v3
	v_mov_b32_e32 v19, v4
	v_mul_f32_e32 v53, v59, v62
	s_wait_loadcnt 0x8
	v_mul_f32_e32 v54, v64, v66
	v_fma_f32 v50, v55, v57, -v50
	v_fma_f32 v1, v1, v37, -v33
	s_wait_loadcnt 0x4
	v_mul_f32_e32 v62, v71, v74
	v_mul_f32_e32 v55, v63, v66
	s_wait_loadcnt 0x2
	v_mul_f32_e32 v33, v76, v78
	v_mul_f32_e32 v3, v75, v78
	v_fma_f32 v9, v9, 2.0, -v47
	s_wait_loadcnt 0x0
	v_mul_f32_e32 v66, v79, v82
	v_fma_f32 v30, v30, 2.0, -v8
	v_fma_f32 v78, v7, 2.0, -v34
	;; [unrolled: 1-line block ×3, first 2 shown]
	v_mul_f32_e32 v58, v72, v74
	v_fma_f32 v74, v93, 2.0, -v32
	v_fma_f32 v85, v95, 2.0, -v48
	;; [unrolled: 1-line block ×3, first 2 shown]
	v_sub_f32_e32 v84, v48, v6
	v_mul_f32_e32 v6, v44, v38
	v_dual_mul_f32 v37, v80, v82 :: v_dual_add_f32 v82, v34, v36
	v_dual_fmac_f32 v51, v56, v57 :: v_dual_mul_f32 v38, v35, v38
	v_mul_f32_e32 v56, v68, v70
	v_dual_mul_f32 v57, v67, v70 :: v_dual_sub_f32 v70, v32, v8
	v_mul_f32_e32 v8, v10, v40
	v_lshlrev_b64_e32 v[14:15], 3, v[14:15]
	v_add_co_u32 v16, vcc_lo, s2, v16
	v_mov_b32_e32 v21, v4
	s_wait_alu 0xfffd
	v_add_co_ci_u32_e32 v17, vcc_lo, s3, v17, vcc_lo
	v_fma_f32 v36, v59, v61, -v52
	v_mul_f32_e32 v40, v43, v40
	v_fma_f32 v11, v11, 2.0, -v35
	v_fma_f32 v52, v5, 2.0, -v44
	v_lshlrev_b64_e32 v[18:19], 3, v[18:19]
	v_add_co_u32 v12, vcc_lo, s2, v12
	v_fmac_f32_e32 v53, v60, v61
	v_fmac_f32_e32 v66, v80, v81
	v_fma_f32 v54, v63, v65, -v54
	v_fmac_f32_e32 v62, v72, v73
	v_fmac_f32_e32 v55, v64, v65
	v_dual_sub_f32 v61, v9, v30 :: v_dual_fmac_f32 v8, v43, v41
	v_fmac_f32_e32 v57, v68, v69
	v_sub_f32_e32 v63, v74, v31
	v_fma_f32 v56, v67, v69, -v56
	v_fma_f32 v47, v47, 2.0, -v28
	v_fma_f32 v64, v32, 2.0, -v70
	v_sub_f32_e32 v65, v78, v7
	v_sub_f32_e32 v67, v85, v29
	v_mov_b32_e32 v23, v4
	s_wait_alu 0xfffd
	v_add_co_ci_u32_e32 v13, vcc_lo, s3, v13, vcc_lo
	v_lshlrev_b64_e32 v[20:21], 3, v[20:21]
	v_add_co_u32 v14, vcc_lo, s2, v14
	v_fma_f32 v7, v10, v41, -v40
	v_mul_f32_e32 v10, v52, v42
	v_mul_f32_e32 v30, v11, v42
	s_wait_alu 0xfffd
	v_add_co_ci_u32_e32 v15, vcc_lo, s3, v15, vcc_lo
	v_fma_f32 v58, v71, v73, -v58
	v_fma_f32 v59, v75, v77, -v33
	v_mul_f32_e32 v33, v63, v51
	v_fma_f32 v68, v34, 2.0, -v82
	v_fma_f32 v5, v44, v39, -v38
	v_dual_mul_f32 v29, v70, v49 :: v_dual_fmac_f32 v6, v35, v39
	v_mul_f32_e32 v32, v28, v49
	v_mul_f32_e32 v38, v61, v51
	;; [unrolled: 1-line block ×4, first 2 shown]
	v_dual_mul_f32 v40, v47, v53 :: v_dual_mul_f32 v43, v65, v62
	v_fma_f32 v49, v78, 2.0, -v65
	v_fma_f32 v51, v85, 2.0, -v67
	v_lshlrev_b64_e32 v[22:23], 3, v[22:23]
	v_add_co_u32 v18, vcc_lo, s2, v18
	v_dual_fmac_f32 v3, v76, v77 :: v_dual_fmac_f32 v10, v11, v46
	v_fma_f32 v48, v48, 2.0, -v84
	v_fma_f32 v41, v9, 2.0, -v61
	s_wait_alu 0xfffd
	v_add_co_ci_u32_e32 v19, vcc_lo, s3, v19, vcc_lo
	v_lshlrev_b64_e32 v[24:25], 3, v[24:25]
	v_add_co_u32 v20, vcc_lo, s2, v20
	v_fma_f32 v9, v52, v46, -v30
	v_fma_f32 v60, v79, v81, -v37
	v_mul_f32_e32 v37, v67, v62
	v_fma_f32 v30, v84, v56, -v34
	v_fmac_f32_e32 v35, v47, v36
	v_fma_f32 v34, v64, v36, -v40
	v_fma_f32 v36, v67, v58, -v43
	v_mul_f32_e32 v11, v51, v66
	v_mul_f32_e32 v43, v49, v66
	s_wait_alu 0xfffd
	v_add_co_ci_u32_e32 v21, vcc_lo, s3, v21, vcc_lo
	v_dual_mul_f32 v31, v84, v57 :: v_dual_mul_f32 v40, v41, v55
	v_mul_f32_e32 v39, v48, v3
	v_mul_f32_e32 v44, v68, v3
	v_add_co_u32 v22, vcc_lo, s2, v22
	s_delay_alu instid0(VALU_DEP_4)
	v_fmac_f32_e32 v31, v82, v56
	s_wait_alu 0xfffd
	v_add_co_ci_u32_e32 v23, vcc_lo, s3, v23, vcc_lo
	s_clause 0x3
	global_store_b64 v[16:17], v[9:10], off
	global_store_b64 v[12:13], v[7:8], off
	;; [unrolled: 1-line block ×4, first 2 shown]
	v_add_nc_u32_e32 v1, 24, v83
	v_add_co_u32 v24, vcc_lo, s2, v24
	v_fmac_f32_e32 v11, v49, v60
	v_fma_f32 v10, v51, v60, -v43
	v_fmac_f32_e32 v29, v28, v45
	v_fma_f32 v28, v70, v45, -v32
	v_fma_f32 v32, v63, v50, -v38
	v_fmac_f32_e32 v39, v68, v59
	v_fma_f32 v38, v48, v59, -v44
	s_wait_alu 0xfffd
	v_add_co_ci_u32_e32 v25, vcc_lo, s3, v25, vcc_lo
	v_fmac_f32_e32 v37, v65, v58
	v_mov_b32_e32 v27, v4
	v_mad_co_u64_u32 v[7:8], null, s4, v83, v[0:1]
	s_clause 0x2
	global_store_b64 v[20:21], v[10:11], off
	global_store_b64 v[22:23], v[38:39], off
	;; [unrolled: 1-line block ×3, first 2 shown]
	v_mad_co_u64_u32 v[9:10], null, s4, v1, v[0:1]
	v_add_nc_u32_e32 v1, 48, v83
	v_dual_fmac_f32 v33, v61, v50 :: v_dual_mov_b32 v8, v4
	v_fma_f32 v42, v74, 2.0, -v63
	v_add_nc_u32_e32 v13, 0x48, v83
	v_lshlrev_b64_e32 v[5:6], 3, v[26:27]
	v_mov_b32_e32 v10, v4
	v_mad_co_u64_u32 v[11:12], null, s4, v1, v[0:1]
	v_lshlrev_b64_e32 v[7:8], 3, v[7:8]
	v_dual_mul_f32 v3, v42, v55 :: v_dual_mov_b32 v12, v4
	v_mad_co_u64_u32 v[0:1], null, s4, v13, v[0:1]
	v_add_co_u32 v5, vcc_lo, s2, v5
	v_lshlrev_b64_e32 v[9:10], 3, v[9:10]
	v_mov_b32_e32 v1, v4
	s_wait_alu 0xfffd
	v_add_co_ci_u32_e32 v6, vcc_lo, s3, v6, vcc_lo
	v_add_co_u32 v7, vcc_lo, s2, v7
	v_lshlrev_b64_e32 v[11:12], 3, v[11:12]
	s_wait_alu 0xfffd
	v_add_co_ci_u32_e32 v8, vcc_lo, s3, v8, vcc_lo
	v_add_co_u32 v9, vcc_lo, s2, v9
	v_lshlrev_b64_e32 v[0:1], 3, v[0:1]
	s_wait_alu 0xfffd
	v_add_co_ci_u32_e32 v10, vcc_lo, s3, v10, vcc_lo
	v_add_co_u32 v11, vcc_lo, s2, v11
	v_fmac_f32_e32 v3, v41, v54
	v_fma_f32 v2, v42, v54, -v40
	s_wait_alu 0xfffd
	v_add_co_ci_u32_e32 v12, vcc_lo, s3, v12, vcc_lo
	v_add_co_u32 v0, vcc_lo, s2, v0
	s_wait_alu 0xfffd
	v_add_co_ci_u32_e32 v1, vcc_lo, s3, v1, vcc_lo
	s_clause 0x4
	global_store_b64 v[5:6], v[30:31], off
	global_store_b64 v[7:8], v[2:3], off
	;; [unrolled: 1-line block ×5, first 2 shown]
.LBB0_28:
	s_nop 0
	s_sendmsg sendmsg(MSG_DEALLOC_VGPRS)
	s_endpgm
	.section	.rodata,"a",@progbits
	.p2align	6, 0x0
	.amdhsa_kernel fft_rtc_fwd_len96_factors_4_2_3_4_wgs_192_tpt_8_dim2_sp_ip_CI_sbcc_twdbase8_2step_dirReg_intrinsicReadWrite
		.amdhsa_group_segment_fixed_size 0
		.amdhsa_private_segment_fixed_size 0
		.amdhsa_kernarg_size 88
		.amdhsa_user_sgpr_count 2
		.amdhsa_user_sgpr_dispatch_ptr 0
		.amdhsa_user_sgpr_queue_ptr 0
		.amdhsa_user_sgpr_kernarg_segment_ptr 1
		.amdhsa_user_sgpr_dispatch_id 0
		.amdhsa_user_sgpr_private_segment_size 0
		.amdhsa_wavefront_size32 1
		.amdhsa_uses_dynamic_stack 0
		.amdhsa_enable_private_segment 0
		.amdhsa_system_sgpr_workgroup_id_x 1
		.amdhsa_system_sgpr_workgroup_id_y 0
		.amdhsa_system_sgpr_workgroup_id_z 0
		.amdhsa_system_sgpr_workgroup_info 0
		.amdhsa_system_vgpr_workitem_id 0
		.amdhsa_next_free_vgpr 97
		.amdhsa_next_free_sgpr 20
		.amdhsa_reserve_vcc 1
		.amdhsa_float_round_mode_32 0
		.amdhsa_float_round_mode_16_64 0
		.amdhsa_float_denorm_mode_32 3
		.amdhsa_float_denorm_mode_16_64 3
		.amdhsa_fp16_overflow 0
		.amdhsa_workgroup_processor_mode 1
		.amdhsa_memory_ordered 1
		.amdhsa_forward_progress 0
		.amdhsa_round_robin_scheduling 0
		.amdhsa_exception_fp_ieee_invalid_op 0
		.amdhsa_exception_fp_denorm_src 0
		.amdhsa_exception_fp_ieee_div_zero 0
		.amdhsa_exception_fp_ieee_overflow 0
		.amdhsa_exception_fp_ieee_underflow 0
		.amdhsa_exception_fp_ieee_inexact 0
		.amdhsa_exception_int_div_zero 0
	.end_amdhsa_kernel
	.text
.Lfunc_end0:
	.size	fft_rtc_fwd_len96_factors_4_2_3_4_wgs_192_tpt_8_dim2_sp_ip_CI_sbcc_twdbase8_2step_dirReg_intrinsicReadWrite, .Lfunc_end0-fft_rtc_fwd_len96_factors_4_2_3_4_wgs_192_tpt_8_dim2_sp_ip_CI_sbcc_twdbase8_2step_dirReg_intrinsicReadWrite
                                        ; -- End function
	.section	.AMDGPU.csdata,"",@progbits
; Kernel info:
; codeLenInByte = 6684
; NumSgprs: 22
; NumVgprs: 97
; ScratchSize: 0
; MemoryBound: 0
; FloatMode: 240
; IeeeMode: 1
; LDSByteSize: 0 bytes/workgroup (compile time only)
; SGPRBlocks: 2
; VGPRBlocks: 12
; NumSGPRsForWavesPerEU: 22
; NumVGPRsForWavesPerEU: 97
; Occupancy: 12
; WaveLimiterHint : 1
; COMPUTE_PGM_RSRC2:SCRATCH_EN: 0
; COMPUTE_PGM_RSRC2:USER_SGPR: 2
; COMPUTE_PGM_RSRC2:TRAP_HANDLER: 0
; COMPUTE_PGM_RSRC2:TGID_X_EN: 1
; COMPUTE_PGM_RSRC2:TGID_Y_EN: 0
; COMPUTE_PGM_RSRC2:TGID_Z_EN: 0
; COMPUTE_PGM_RSRC2:TIDIG_COMP_CNT: 0
	.text
	.p2alignl 7, 3214868480
	.fill 96, 4, 3214868480
	.type	__hip_cuid_f0b5e706d120c088,@object ; @__hip_cuid_f0b5e706d120c088
	.section	.bss,"aw",@nobits
	.globl	__hip_cuid_f0b5e706d120c088
__hip_cuid_f0b5e706d120c088:
	.byte	0                               ; 0x0
	.size	__hip_cuid_f0b5e706d120c088, 1

	.ident	"AMD clang version 19.0.0git (https://github.com/RadeonOpenCompute/llvm-project roc-6.4.0 25133 c7fe45cf4b819c5991fe208aaa96edf142730f1d)"
	.section	".note.GNU-stack","",@progbits
	.addrsig
	.addrsig_sym __hip_cuid_f0b5e706d120c088
	.amdgpu_metadata
---
amdhsa.kernels:
  - .args:
      - .actual_access:  read_only
        .address_space:  global
        .offset:         0
        .size:           8
        .value_kind:     global_buffer
      - .address_space:  global
        .offset:         8
        .size:           8
        .value_kind:     global_buffer
      - .actual_access:  read_only
        .address_space:  global
        .offset:         16
        .size:           8
        .value_kind:     global_buffer
      - .actual_access:  read_only
        .address_space:  global
        .offset:         24
        .size:           8
        .value_kind:     global_buffer
      - .offset:         32
        .size:           8
        .value_kind:     by_value
      - .actual_access:  read_only
        .address_space:  global
        .offset:         40
        .size:           8
        .value_kind:     global_buffer
      - .actual_access:  read_only
        .address_space:  global
        .offset:         48
        .size:           8
        .value_kind:     global_buffer
      - .offset:         56
        .size:           4
        .value_kind:     by_value
      - .actual_access:  read_only
        .address_space:  global
        .offset:         64
        .size:           8
        .value_kind:     global_buffer
      - .actual_access:  read_only
        .address_space:  global
        .offset:         72
        .size:           8
        .value_kind:     global_buffer
      - .address_space:  global
        .offset:         80
        .size:           8
        .value_kind:     global_buffer
    .group_segment_fixed_size: 0
    .kernarg_segment_align: 8
    .kernarg_segment_size: 88
    .language:       OpenCL C
    .language_version:
      - 2
      - 0
    .max_flat_workgroup_size: 192
    .name:           fft_rtc_fwd_len96_factors_4_2_3_4_wgs_192_tpt_8_dim2_sp_ip_CI_sbcc_twdbase8_2step_dirReg_intrinsicReadWrite
    .private_segment_fixed_size: 0
    .sgpr_count:     22
    .sgpr_spill_count: 0
    .symbol:         fft_rtc_fwd_len96_factors_4_2_3_4_wgs_192_tpt_8_dim2_sp_ip_CI_sbcc_twdbase8_2step_dirReg_intrinsicReadWrite.kd
    .uniform_work_group_size: 1
    .uses_dynamic_stack: false
    .vgpr_count:     97
    .vgpr_spill_count: 0
    .wavefront_size: 32
    .workgroup_processor_mode: 1
amdhsa.target:   amdgcn-amd-amdhsa--gfx1201
amdhsa.version:
  - 1
  - 2
...

	.end_amdgpu_metadata
